;; amdgpu-corpus repo=ROCm/rocFFT kind=compiled arch=gfx950 opt=O3
	.text
	.amdgcn_target "amdgcn-amd-amdhsa--gfx950"
	.amdhsa_code_object_version 6
	.protected	fft_rtc_fwd_len336_factors_6_7_8_wgs_336_tpt_56_sp_op_CI_CI_sbcr_dirReg_intrinsicReadWrite ; -- Begin function fft_rtc_fwd_len336_factors_6_7_8_wgs_336_tpt_56_sp_op_CI_CI_sbcr_dirReg_intrinsicReadWrite
	.globl	fft_rtc_fwd_len336_factors_6_7_8_wgs_336_tpt_56_sp_op_CI_CI_sbcr_dirReg_intrinsicReadWrite
	.p2align	8
	.type	fft_rtc_fwd_len336_factors_6_7_8_wgs_336_tpt_56_sp_op_CI_CI_sbcr_dirReg_intrinsicReadWrite,@function
fft_rtc_fwd_len336_factors_6_7_8_wgs_336_tpt_56_sp_op_CI_CI_sbcr_dirReg_intrinsicReadWrite: ; @fft_rtc_fwd_len336_factors_6_7_8_wgs_336_tpt_56_sp_op_CI_CI_sbcr_dirReg_intrinsicReadWrite
; %bb.0:
	s_load_dwordx4 s[20:23], s[0:1], 0x10
	s_load_dwordx2 s[30:31], s[0:1], 0x20
	s_mov_b32 s3, 0
	s_mov_b64 s[28:29], 0
	s_waitcnt lgkmcnt(0)
	s_load_dwordx2 s[24:25], s[20:21], 0x8
	s_waitcnt lgkmcnt(0)
	s_add_u32 s4, s24, -1
	s_addc_u32 s5, s25, -1
	s_add_u32 s6, 0, 0xaaa80000
	s_addc_u32 s7, 0, 0xaa
	s_mul_hi_u32 s9, s6, -6
	s_add_i32 s7, s7, 0x2aaaaa00
	s_sub_i32 s9, s9, s6
	s_mul_i32 s12, s7, -6
	s_mul_i32 s8, s6, -6
	s_add_i32 s9, s9, s12
	s_mul_hi_u32 s10, s7, s8
	s_mul_i32 s11, s7, s8
	s_mul_i32 s13, s6, s9
	s_mul_hi_u32 s8, s6, s8
	s_mul_hi_u32 s12, s6, s9
	s_add_u32 s8, s8, s13
	s_addc_u32 s12, 0, s12
	s_add_u32 s8, s8, s11
	s_mul_hi_u32 s13, s7, s9
	s_addc_u32 s8, s12, s10
	s_addc_u32 s10, s13, 0
	s_mul_i32 s9, s7, s9
	s_add_u32 s8, s8, s9
	v_mov_b32_e32 v1, s8
	s_addc_u32 s9, 0, s10
	v_add_co_u32_e32 v1, vcc, s6, v1
	s_cmp_lg_u64 vcc, 0
	s_addc_u32 s6, s7, s9
	v_readfirstlane_b32 s9, v1
	s_mul_i32 s8, s4, s6
	s_mul_hi_u32 s10, s4, s9
	s_mul_hi_u32 s7, s4, s6
	s_add_u32 s8, s10, s8
	s_addc_u32 s7, 0, s7
	s_mul_hi_u32 s11, s5, s9
	s_mul_i32 s9, s5, s9
	s_add_u32 s8, s8, s9
	s_mul_hi_u32 s10, s5, s6
	s_addc_u32 s7, s7, s11
	s_addc_u32 s8, s10, 0
	s_mul_i32 s6, s5, s6
	s_add_u32 s6, s7, s6
	s_addc_u32 s7, 0, s8
	s_add_u32 s8, s6, 1
	s_addc_u32 s9, s7, 0
	s_add_u32 s10, s6, 2
	s_mul_i32 s12, s7, 6
	s_mul_hi_u32 s13, s6, 6
	s_addc_u32 s11, s7, 0
	s_add_i32 s13, s13, s12
	s_mul_i32 s12, s6, 6
	v_mov_b32_e32 v1, s12
	v_sub_co_u32_e32 v1, vcc, s4, v1
	s_cmp_lg_u64 vcc, 0
	s_subb_u32 s4, s5, s13
	v_subrev_co_u32_e32 v2, vcc, 6, v1
	s_cmp_lg_u64 vcc, 0
	s_subb_u32 s5, s4, 0
	v_readfirstlane_b32 s12, v2
	s_cmp_gt_u32 s12, 5
	s_cselect_b32 s12, -1, 0
	s_cmp_eq_u32 s5, 0
	s_cselect_b32 s5, s12, -1
	s_cmp_lg_u32 s5, 0
	s_cselect_b32 s5, s10, s8
	s_cselect_b32 s8, s11, s9
	v_readfirstlane_b32 s9, v1
	s_cmp_gt_u32 s9, 5
	s_cselect_b32 s9, -1, 0
	s_cmp_eq_u32 s4, 0
	s_cselect_b32 s4, s9, -1
	s_cmp_lg_u32 s4, 0
	s_cselect_b32 s5, s5, s6
	s_cselect_b32 s4, s8, s7
	s_add_u32 s34, s5, 1
	s_addc_u32 s35, s4, 0
	v_mov_b64_e32 v[2:3], s[34:35]
	v_cmp_lt_u64_e32 vcc, s[2:3], v[2:3]
	s_cbranch_vccnz .LBB0_2
; %bb.1:
	v_cvt_f32_u32_e32 v1, s34
	s_sub_i32 s4, 0, s34
	s_mov_b32 s29, s3
	v_rcp_iflag_f32_e32 v1, v1
	s_nop 0
	v_mul_f32_e32 v1, 0x4f7ffffe, v1
	v_cvt_u32_f32_e32 v1, v1
	s_nop 0
	v_readfirstlane_b32 s5, v1
	s_mul_i32 s4, s4, s5
	s_mul_hi_u32 s4, s5, s4
	s_add_i32 s5, s5, s4
	s_mul_hi_u32 s4, s2, s5
	s_mul_i32 s6, s4, s34
	s_sub_i32 s6, s2, s6
	s_add_i32 s5, s4, 1
	s_sub_i32 s7, s6, s34
	s_cmp_ge_u32 s6, s34
	s_cselect_b32 s4, s5, s4
	s_cselect_b32 s6, s7, s6
	s_add_i32 s5, s4, 1
	s_cmp_ge_u32 s6, s34
	s_cselect_b32 s28, s5, s4
.LBB0_2:
	s_load_dwordx4 s[8:11], s[0:1], 0x58
	s_load_dwordx4 s[12:15], s[0:1], 0x0
	;; [unrolled: 1-line block ×4, first 2 shown]
	s_mul_i32 s0, s28, s35
	s_mul_hi_u32 s1, s28, s34
	s_add_i32 s1, s1, s0
	s_mul_i32 s0, s28, s34
	s_sub_u32 s0, s2, s0
	s_subb_u32 s1, 0, s1
	s_mul_i32 s1, s1, 6
	s_waitcnt lgkmcnt(0)
	s_mul_hi_u32 s17, s0, 6
	s_add_i32 s27, s17, s1
	s_mul_i32 s26, s0, 6
	s_mul_i32 s0, s18, s27
	s_mul_hi_u32 s1, s18, s26
	s_add_i32 s0, s1, s0
	s_mul_i32 s1, s19, s26
	s_add_i32 s48, s0, s1
	s_mul_i32 s0, s6, s27
	s_mul_hi_u32 s1, s6, s26
	s_add_i32 s0, s1, s0
	s_mul_i32 s1, s7, s26
	s_add_i32 s17, s0, s1
	v_cmp_lt_u64_e64 s[0:1], s[14:15], 3
	s_mul_i32 s33, s18, s26
	s_mul_i32 s19, s6, s26
	s_and_b64 vcc, exec, s[0:1]
	s_cbranch_vccnz .LBB0_12
; %bb.3:
	s_add_u32 s36, s30, 16
	s_addc_u32 s37, s31, 0
	s_add_u32 s38, s22, 16
	s_addc_u32 s39, s23, 0
	;; [unrolled: 2-line block ×3, first 2 shown]
	s_mov_b64 s[40:41], 2
	s_mov_b32 s42, 0
	v_mov_b64_e32 v[2:3], s[14:15]
.LBB0_4:                                ; =>This Inner Loop Header: Depth=1
	s_load_dwordx2 s[44:45], s[20:21], 0x0
	s_waitcnt lgkmcnt(0)
	s_or_b64 s[0:1], s[28:29], s[44:45]
	s_mov_b32 s43, s1
	s_cmp_lg_u64 s[42:43], 0
	s_cbranch_scc0 .LBB0_9
; %bb.5:                                ;   in Loop: Header=BB0_4 Depth=1
	v_cvt_f32_u32_e32 v1, s44
	v_cvt_f32_u32_e32 v4, s45
	s_sub_u32 s0, 0, s44
	s_subb_u32 s1, 0, s45
	v_fmac_f32_e32 v1, 0x4f800000, v4
	v_rcp_f32_e32 v1, v1
	s_nop 0
	v_mul_f32_e32 v1, 0x5f7ffffc, v1
	v_mul_f32_e32 v4, 0x2f800000, v1
	v_trunc_f32_e32 v4, v4
	v_fmac_f32_e32 v1, 0xcf800000, v4
	v_cvt_u32_f32_e32 v4, v4
	v_cvt_u32_f32_e32 v1, v1
	v_readfirstlane_b32 s43, v4
	v_readfirstlane_b32 s46, v1
	s_mul_i32 s47, s0, s43
	s_mul_hi_u32 s50, s0, s46
	s_mul_i32 s49, s1, s46
	s_add_i32 s47, s50, s47
	s_mul_i32 s51, s0, s46
	s_add_i32 s47, s47, s49
	s_mul_hi_u32 s49, s46, s47
	s_mul_i32 s50, s46, s47
	s_mul_hi_u32 s46, s46, s51
	s_add_u32 s46, s46, s50
	s_addc_u32 s49, 0, s49
	s_mul_hi_u32 s52, s43, s51
	s_mul_i32 s51, s43, s51
	s_add_u32 s46, s46, s51
	s_mul_hi_u32 s50, s43, s47
	s_addc_u32 s46, s49, s52
	s_addc_u32 s49, s50, 0
	s_mul_i32 s47, s43, s47
	s_add_u32 s46, s46, s47
	s_addc_u32 s47, 0, s49
	v_add_co_u32_e32 v1, vcc, s46, v1
	s_cmp_lg_u64 vcc, 0
	s_addc_u32 s43, s43, s47
	v_readfirstlane_b32 s47, v1
	s_mul_i32 s46, s0, s43
	s_mul_hi_u32 s49, s0, s47
	s_add_i32 s46, s49, s46
	s_mul_i32 s1, s1, s47
	s_add_i32 s46, s46, s1
	s_mul_i32 s0, s0, s47
	s_mul_hi_u32 s49, s43, s0
	s_mul_i32 s50, s43, s0
	s_mul_i32 s52, s47, s46
	s_mul_hi_u32 s0, s47, s0
	s_mul_hi_u32 s51, s47, s46
	s_add_u32 s0, s0, s52
	s_addc_u32 s47, 0, s51
	s_add_u32 s0, s0, s50
	s_mul_hi_u32 s1, s43, s46
	s_addc_u32 s0, s47, s49
	s_addc_u32 s1, s1, 0
	s_mul_i32 s46, s43, s46
	s_add_u32 s0, s0, s46
	s_addc_u32 s1, 0, s1
	v_add_co_u32_e32 v1, vcc, s0, v1
	s_cmp_lg_u64 vcc, 0
	s_addc_u32 s0, s43, s1
	v_readfirstlane_b32 s46, v1
	s_mul_i32 s43, s28, s0
	s_mul_hi_u32 s47, s28, s46
	s_mul_hi_u32 s1, s28, s0
	s_add_u32 s43, s47, s43
	s_addc_u32 s1, 0, s1
	s_mul_hi_u32 s49, s29, s46
	s_mul_i32 s46, s29, s46
	s_add_u32 s43, s43, s46
	s_mul_hi_u32 s47, s29, s0
	s_addc_u32 s1, s1, s49
	s_addc_u32 s43, s47, 0
	s_mul_i32 s0, s29, s0
	s_add_u32 s46, s1, s0
	s_addc_u32 s43, 0, s43
	s_mul_i32 s0, s44, s43
	s_mul_hi_u32 s1, s44, s46
	s_add_i32 s0, s1, s0
	s_mul_i32 s1, s45, s46
	s_add_i32 s47, s0, s1
	s_mul_i32 s1, s44, s46
	v_mov_b32_e32 v1, s1
	s_sub_i32 s0, s29, s47
	v_sub_co_u32_e32 v1, vcc, s28, v1
	s_cmp_lg_u64 vcc, 0
	s_subb_u32 s49, s0, s45
	v_subrev_co_u32_e64 v4, s[0:1], s44, v1
	s_cmp_lg_u64 s[0:1], 0
	s_subb_u32 s0, s49, 0
	s_cmp_ge_u32 s0, s45
	v_readfirstlane_b32 s49, v4
	s_cselect_b32 s1, -1, 0
	s_cmp_ge_u32 s49, s44
	s_cselect_b32 s49, -1, 0
	s_cmp_eq_u32 s0, s45
	s_cselect_b32 s0, s49, s1
	s_add_u32 s1, s46, 1
	s_addc_u32 s49, s43, 0
	s_add_u32 s50, s46, 2
	s_addc_u32 s51, s43, 0
	s_cmp_lg_u32 s0, 0
	s_cselect_b32 s0, s50, s1
	s_cselect_b32 s1, s51, s49
	s_cmp_lg_u64 vcc, 0
	s_subb_u32 s47, s29, s47
	s_cmp_ge_u32 s47, s45
	v_readfirstlane_b32 s50, v1
	s_cselect_b32 s49, -1, 0
	s_cmp_ge_u32 s50, s44
	s_cselect_b32 s50, -1, 0
	s_cmp_eq_u32 s47, s45
	s_cselect_b32 s47, s50, s49
	s_cmp_lg_u32 s47, 0
	s_cselect_b32 s1, s1, s43
	s_cselect_b32 s0, s0, s46
	s_cbranch_execnz .LBB0_7
.LBB0_6:                                ;   in Loop: Header=BB0_4 Depth=1
	v_cvt_f32_u32_e32 v1, s44
	s_sub_i32 s0, 0, s44
	v_rcp_iflag_f32_e32 v1, v1
	s_nop 0
	v_mul_f32_e32 v1, 0x4f7ffffe, v1
	v_cvt_u32_f32_e32 v1, v1
	s_nop 0
	v_readfirstlane_b32 s1, v1
	s_mul_i32 s0, s0, s1
	s_mul_hi_u32 s0, s1, s0
	s_add_i32 s1, s1, s0
	s_mul_hi_u32 s0, s28, s1
	s_mul_i32 s43, s0, s44
	s_sub_i32 s43, s28, s43
	s_add_i32 s1, s0, 1
	s_sub_i32 s46, s43, s44
	s_cmp_ge_u32 s43, s44
	s_cselect_b32 s0, s1, s0
	s_cselect_b32 s43, s46, s43
	s_add_i32 s1, s0, 1
	s_cmp_ge_u32 s43, s44
	s_cselect_b32 s0, s1, s0
	s_mov_b32 s1, s42
.LBB0_7:                                ;   in Loop: Header=BB0_4 Depth=1
	s_mul_i32 s35, s44, s35
	s_mul_hi_u32 s43, s44, s34
	s_add_i32 s35, s43, s35
	s_mul_i32 s43, s45, s34
	s_add_i32 s35, s35, s43
	s_mul_i32 s43, s0, s45
	s_mul_hi_u32 s45, s0, s44
	s_load_dwordx2 s[46:47], s[38:39], 0x0
	s_add_i32 s43, s45, s43
	s_mul_i32 s45, s1, s44
	s_mul_i32 s34, s44, s34
	s_add_i32 s43, s43, s45
	s_mul_i32 s44, s0, s44
	s_sub_u32 s44, s28, s44
	s_subb_u32 s43, s29, s43
	s_waitcnt lgkmcnt(0)
	s_mul_i32 s28, s46, s43
	s_mul_hi_u32 s29, s46, s44
	s_add_i32 s45, s29, s28
	s_load_dwordx2 s[28:29], s[36:37], 0x0
	s_mul_i32 s47, s47, s44
	s_add_i32 s45, s45, s47
	s_mul_i32 s46, s46, s44
	s_add_u32 s33, s46, s33
	s_addc_u32 s48, s45, s48
	s_waitcnt lgkmcnt(0)
	s_mul_i32 s43, s28, s43
	s_mul_hi_u32 s45, s28, s44
	s_add_i32 s43, s45, s43
	s_mul_i32 s29, s29, s44
	s_add_i32 s43, s43, s29
	s_mul_i32 s28, s28, s44
	s_add_u32 s19, s28, s19
	s_addc_u32 s17, s43, s17
	s_add_u32 s40, s40, 1
	s_addc_u32 s41, s41, 0
	;; [unrolled: 2-line block ×4, first 2 shown]
	s_add_u32 s20, s20, 8
	v_cmp_ge_u64_e32 vcc, s[40:41], v[2:3]
	s_addc_u32 s21, s21, 0
	s_cbranch_vccnz .LBB0_10
; %bb.8:                                ;   in Loop: Header=BB0_4 Depth=1
	s_mov_b64 s[28:29], s[0:1]
	s_branch .LBB0_4
.LBB0_9:                                ;   in Loop: Header=BB0_4 Depth=1
                                        ; implicit-def: $sgpr0_sgpr1
	s_branch .LBB0_6
.LBB0_10:
	v_mov_b64_e32 v[2:3], s[34:35]
	v_cmp_lt_u64_e32 vcc, s[2:3], v[2:3]
	s_mov_b64 s[28:29], 0
	s_cbranch_vccnz .LBB0_12
; %bb.11:
	v_cvt_f32_u32_e32 v1, s34
	s_sub_i32 s0, 0, s34
	v_rcp_iflag_f32_e32 v1, v1
	s_nop 0
	v_mul_f32_e32 v1, 0x4f7ffffe, v1
	v_cvt_u32_f32_e32 v1, v1
	s_nop 0
	v_readfirstlane_b32 s1, v1
	s_mul_i32 s0, s0, s1
	s_mul_hi_u32 s0, s1, s0
	s_add_i32 s1, s1, s0
	s_mul_hi_u32 s0, s2, s1
	s_mul_i32 s3, s0, s34
	s_sub_i32 s2, s2, s3
	s_add_i32 s1, s0, 1
	s_sub_i32 s3, s2, s34
	s_cmp_ge_u32 s2, s34
	s_cselect_b32 s0, s1, s0
	s_cselect_b32 s2, s3, s2
	s_add_i32 s1, s0, 1
	s_cmp_ge_u32 s2, s34
	s_cselect_b32 s28, s1, s0
.LBB0_12:
	s_lshl_b64 s[0:1], s[14:15], 3
	s_add_u32 s2, s22, s0
	s_addc_u32 s3, s23, s1
	s_load_dwordx2 s[2:3], s[2:3], 0x0
	v_mul_u32_u24_e32 v1, 0x2aab, v0
	v_lshrrev_b32_e32 v1, 16, v1
	v_mul_lo_u16_e32 v2, 6, v1
	v_sub_u16_e32 v4, v0, v2
	s_waitcnt lgkmcnt(0)
	s_mul_i32 s2, s2, s28
	s_add_u32 s20, s2, s33
	s_add_u32 s14, s30, s0
	s_addc_u32 s15, s31, s1
	s_add_u32 s0, s26, 6
	s_mov_b32 s2, 0
	s_addc_u32 s1, s27, 0
	v_mov_b64_e32 v[2:3], s[24:25]
	v_mov_b32_e32 v5, s2
	v_cmp_gt_u64_e32 vcc, s[0:1], v[2:3]
	v_cmp_le_u64_e64 s[0:1], s[0:1], v[2:3]
	v_mad_u64_u32 v[8:9], s[2:3], s18, v4, 0
	v_lshl_add_u64 v[2:3], s[26:27], 0, v[4:5]
	v_cmp_gt_u64_e64 s[2:3], s[24:25], v[2:3]
	s_or_b64 s[0:1], s[0:1], s[2:3]
	v_mov_b32_e32 v2, 0
	v_mov_b32_e32 v6, 0
	;; [unrolled: 1-line block ×3, first 2 shown]
	s_and_saveexec_b64 s[2:3], s[0:1]
	s_cbranch_execz .LBB0_14
; %bb.13:
	v_mul_lo_u32 v3, s16, v1
	v_add3_u32 v6, s20, v8, v3
	v_mov_b32_e32 v7, 0
	v_lshl_add_u64 v[6:7], v[6:7], 3, s[8:9]
	global_load_dwordx2 v[6:7], v[6:7], off
.LBB0_14:
	s_or_b64 exec, exec, s[2:3]
	v_mov_b32_e32 v3, 0
	s_and_saveexec_b64 s[2:3], s[0:1]
	s_cbranch_execz .LBB0_16
; %bb.15:
	v_add_u32_e32 v2, 56, v1
	v_mul_lo_u32 v2, s16, v2
	v_add3_u32 v2, s20, v8, v2
	v_mov_b32_e32 v3, 0
	v_lshl_add_u64 v[2:3], v[2:3], 3, s[8:9]
	global_load_dwordx2 v[2:3], v[2:3], off
.LBB0_16:
	s_or_b64 exec, exec, s[2:3]
	v_mov_b32_e32 v10, 0
	v_mov_b32_e32 v12, 0
	;; [unrolled: 1-line block ×3, first 2 shown]
	s_and_saveexec_b64 s[2:3], s[0:1]
	s_cbranch_execz .LBB0_18
; %bb.17:
	v_add_u32_e32 v5, 0x70, v1
	v_mul_lo_u32 v5, s16, v5
	v_add3_u32 v12, s20, v8, v5
	v_mov_b32_e32 v13, 0
	v_lshl_add_u64 v[12:13], v[12:13], 3, s[8:9]
	global_load_dwordx2 v[12:13], v[12:13], off
.LBB0_18:
	s_or_b64 exec, exec, s[2:3]
	v_mov_b32_e32 v11, 0
	s_and_saveexec_b64 s[2:3], s[0:1]
	s_cbranch_execz .LBB0_20
; %bb.19:
	v_add_u32_e32 v5, 0xa8, v1
	v_mul_lo_u32 v5, s16, v5
	v_add3_u32 v10, s20, v8, v5
	v_mov_b32_e32 v11, 0
	v_lshl_add_u64 v[10:11], v[10:11], 3, s[8:9]
	global_load_dwordx2 v[10:11], v[10:11], off
.LBB0_20:
	s_or_b64 exec, exec, s[2:3]
	v_mov_b32_e32 v14, 0
	v_mov_b32_e32 v16, 0
	v_mov_b32_e32 v17, 0
	s_and_saveexec_b64 s[2:3], s[0:1]
	s_cbranch_execz .LBB0_22
; %bb.21:
	v_add_u32_e32 v5, 0xe0, v1
	v_mul_lo_u32 v5, s16, v5
	v_add3_u32 v16, s20, v8, v5
	v_mov_b32_e32 v17, 0
	v_lshl_add_u64 v[16:17], v[16:17], 3, s[8:9]
	global_load_dwordx2 v[16:17], v[16:17], off
.LBB0_22:
	s_or_b64 exec, exec, s[2:3]
	v_mov_b32_e32 v15, 0
	s_and_saveexec_b64 s[2:3], s[0:1]
	s_cbranch_execz .LBB0_24
; %bb.23:
	v_add_u32_e32 v5, 0x118, v1
	v_mul_lo_u32 v5, s16, v5
	v_add3_u32 v8, s20, v8, v5
	v_mov_b32_e32 v9, 0
	v_lshl_add_u64 v[8:9], v[8:9], 3, s[8:9]
	global_load_dwordx2 v[14:15], v[8:9], off
.LBB0_24:
	s_or_b64 exec, exec, s[2:3]
	s_waitcnt vmcnt(0)
	v_pk_add_f32 v[8:9], v[12:13], v[16:17] neg_lo:[0,1] neg_hi:[0,1]
	v_pk_add_f32 v[18:19], v[6:7], v[12:13]
	v_pk_add_f32 v[12:13], v[12:13], v[16:17]
	s_mov_b32 s0, 0x3f5db3d7
	v_pk_fma_f32 v[6:7], v[12:13], 0.5, v[6:7] op_sel_hi:[1,0,1] neg_lo:[1,0,0] neg_hi:[1,0,0]
	s_mov_b32 s1, 0.5
	v_pk_add_f32 v[12:13], v[10:11], v[14:15]
	v_pk_add_f32 v[20:21], v[10:11], v[14:15] neg_lo:[0,1] neg_hi:[0,1]
	v_pk_add_f32 v[10:11], v[2:3], v[10:11]
	v_pk_fma_f32 v[2:3], v[12:13], 0.5, v[2:3] op_sel_hi:[1,0,1] neg_lo:[1,0,0] neg_hi:[1,0,0]
	v_pk_mul_f32 v[12:13], v[20:21], s[0:1] op_sel_hi:[1,0]
	s_mov_b32 s8, -0.5
	v_pk_add_f32 v[20:21], v[2:3], v[12:13] op_sel:[0,1] op_sel_hi:[1,0] neg_lo:[0,1] neg_hi:[0,1]
	v_pk_add_f32 v[12:13], v[2:3], v[12:13] op_sel:[0,1] op_sel_hi:[1,0]
	v_mov_b32_e32 v2, v21
	v_mov_b32_e32 v3, v12
	v_pk_mul_f32 v[22:23], v[2:3], s[0:1]
	v_pk_add_f32 v[24:25], v[10:11], v[14:15]
	v_mov_b32_e32 v22, v23
	v_mov_b32_e32 v10, v20
	;; [unrolled: 1-line block ×3, first 2 shown]
	s_mov_b32 s9, 0xbf5db3d7
	v_pk_fma_f32 v[22:23], v[2:3], s[0:1], v[22:23]
	v_pk_mul_f32 v[10:11], v[10:11], s[8:9]
	v_mov_b32_e32 v14, v13
	v_mov_b32_e32 v15, v21
	v_mul_f32_e32 v12, -0.5, v13
	v_pk_add_f32 v[16:17], v[18:19], v[16:17]
	v_fmac_f32_e32 v12, 0xbf5db3d7, v20
	v_pk_fma_f32 v[20:21], v[8:9], s[0:1], v[6:7] op_sel:[0,0,1] op_sel_hi:[1,0,0] neg_lo:[1,0,0] neg_hi:[1,0,0]
	v_pk_fma_f32 v[26:27], v[8:9], s[0:1], v[6:7] op_sel:[0,0,1] op_sel_hi:[1,0,0]
	v_pk_fma_f32 v[28:29], v[14:15], s[0:1], v[10:11]
	v_mov_b32_e32 v13, v22
	s_load_dwordx2 s[2:3], s[14:15], 0x0
	v_pk_add_f32 v[10:11], v[26:27], v[12:13]
	v_pk_add_f32 v[18:19], v[26:27], v[12:13] neg_lo:[0,1] neg_hi:[0,1]
	v_mov_b32_e32 v6, v21
	v_mov_b32_e32 v7, v17
	;; [unrolled: 1-line block ×7, first 2 shown]
	s_movk_i32 s0, 0x120
	v_pk_add_f32 v[8:9], v[6:7], v[8:9] neg_lo:[0,1] neg_hi:[0,1]
	v_pk_add_f32 v[6:7], v[20:21], v[28:29] op_sel:[1,0] op_sel_hi:[0,1]
	v_pk_add_f32 v[12:13], v[30:31], v[12:13] neg_lo:[0,1] neg_hi:[0,1]
	v_mad_u32_u24 v5, v1, s0, 0
	v_pk_add_f32 v[2:3], v[16:17], v[24:25]
	v_pk_add_f32 v[14:15], v[20:21], v[28:29] op_sel:[1,0] op_sel_hi:[0,1] neg_lo:[0,1] neg_hi:[0,1]
	v_lshl_add_u32 v11, v4, 3, v5
	v_mov_b32_e32 v17, v20
	v_mov_b32_e32 v7, v10
	;; [unrolled: 1-line block ×6, first 2 shown]
	ds_write2_b64 v11, v[6:7], v[20:21] offset0:12 offset1:18
	v_mov_b32_e32 v14, v19
	v_mov_b32_e32 v20, v8
	;; [unrolled: 1-line block ×3, first 2 shown]
	v_pk_add_f32 v[16:17], v[16:17], v[22:23]
	ds_write2_b64 v11, v[14:15], v[20:21] offset0:24 offset1:30
	v_cmp_gt_u32_e64 s[0:1], s0, v0
	v_lshlrev_b32_e32 v20, 3, v4
	ds_write2_b64 v11, v[2:3], v[16:17] offset1:6
	s_waitcnt lgkmcnt(0)
	s_barrier
	s_waitcnt lgkmcnt(0)
                                        ; implicit-def: $vgpr18
                                        ; implicit-def: $vgpr4
	s_and_saveexec_b64 s[8:9], s[0:1]
	s_cbranch_execz .LBB0_26
; %bb.25:
	v_mul_i32_i24_e32 v2, 0xffffff10, v1
	v_add3_u32 v4, v5, v2, v20
	ds_read_b64 v[10:11], v4 offset:6912
	ds_read_b64 v[12:13], v4 offset:11520
	ds_read_b64 v[2:3], v4
	ds_read_b64 v[16:17], v4 offset:2304
	ds_read_b64 v[6:7], v4 offset:4608
	;; [unrolled: 1-line block ×4, first 2 shown]
	s_waitcnt lgkmcnt(5)
	v_mov_b32_e32 v8, v12
	v_mov_b32_e32 v9, v11
	v_mov_b32_e32 v12, v13
	v_mov_b32_e32 v13, v10
	s_waitcnt lgkmcnt(0)
	v_mov_b32_e32 v18, v5
	v_mov_b32_e32 v10, v7
	;; [unrolled: 1-line block ×3, first 2 shown]
.LBB0_26:
	s_or_b64 exec, exec, s[8:9]
	v_mul_lo_u16_e32 v5, 43, v1
	v_lshrrev_b16_e32 v5, 8, v5
	v_mul_lo_u16_e32 v7, 6, v5
	v_sub_u16_e32 v7, v1, v7
	v_and_b32_e32 v21, 0xff, v7
	v_mul_u32_u24_e32 v7, 6, v21
	v_lshlrev_b32_e32 v7, 3, v7
	global_load_dwordx4 v[22:25], v7, s[12:13]
	global_load_dwordx4 v[26:29], v7, s[12:13] offset:16
	global_load_dwordx4 v[30:33], v7, s[12:13] offset:32
	v_mov_b32_e32 v7, v15
	v_mov_b32_e32 v11, v19
	;; [unrolled: 1-line block ×4, first 2 shown]
	s_mov_b32 s20, 0x3d64c772
	s_mov_b32 s22, 0x3eae86e6
	;; [unrolled: 1-line block ×11, first 2 shown]
	s_barrier
	s_waitcnt vmcnt(2)
	v_mul_f32_e32 v35, v10, v25
	s_waitcnt vmcnt(1)
	v_mul_f32_e32 v37, v9, v26
	v_mul_f32_e32 v15, v15, v28
	s_waitcnt vmcnt(0)
	v_mul_f32_e32 v38, v12, v31
	v_mov_b32_e32 v41, v28
	v_mov_b32_e32 v28, v25
	;; [unrolled: 1-line block ×4, first 2 shown]
	v_mul_f32_e32 v19, v19, v29
	v_pk_mul_f32 v[16:17], v[16:17], v[22:23] op_sel_hi:[0,1]
	v_mov_b32_e32 v40, v24
	v_mov_b32_e32 v42, v30
	v_pk_mul_f32 v[44:45], v[4:5], v[32:33] op_sel_hi:[0,1]
	v_fma_f32 v36, v6, v24, -v35
	v_fma_f32 v38, v8, v30, -v38
	v_pk_mul_f32 v[6:7], v[6:7], v[28:29]
	v_pk_mul_f32 v[8:9], v[8:9], v[26:27]
	v_mul_f32_e32 v39, v13, v27
	v_pk_fma_f32 v[46:47], v[14:15], v[22:23], v[16:17] op_sel:[0,0,1] op_sel_hi:[1,1,0]
	v_pk_fma_f32 v[16:17], v[34:35], v[22:23], v[16:17] op_sel:[0,0,1] op_sel_hi:[0,1,0] neg_lo:[1,0,0] neg_hi:[1,0,0]
	v_pk_fma_f32 v[22:23], v[18:19], v[32:33], v[44:45] op_sel:[0,0,1] op_sel_hi:[1,1,0]
	v_pk_fma_f32 v[26:27], v[18:19], v[32:33], v[44:45] op_sel:[0,0,1] op_sel_hi:[0,1,0] neg_lo:[1,0,0] neg_hi:[1,0,0]
	v_pk_fma_f32 v[24:25], v[10:11], v[24:25], v[6:7]
	v_pk_fma_f32 v[6:7], v[10:11], v[40:41], v[6:7] neg_lo:[0,0,1] neg_hi:[0,0,1]
	v_pk_fma_f32 v[10:11], v[12:13], v[30:31], v[8:9]
	v_pk_fma_f32 v[8:9], v[12:13], v[42:43], v[8:9] neg_lo:[0,0,1] neg_hi:[0,0,1]
	v_mov_b32_e32 v47, v17
	v_mov_b32_e32 v23, v27
	;; [unrolled: 1-line block ×6, first 2 shown]
	v_pk_add_f32 v[28:29], v[36:37], v[38:39]
	v_pk_add_f32 v[26:27], v[46:47], v[22:23]
	v_pk_add_f32 v[14:15], v[14:15], v[18:19]
	v_pk_add_f32 v[18:19], v[24:25], v[10:11]
	v_mov_b32_e32 v13, v36
	v_mov_b32_e32 v17, v38
	;; [unrolled: 1-line block ×8, first 2 shown]
	v_pk_add_f32 v[22:23], v[46:47], v[22:23] neg_lo:[0,1] neg_hi:[0,1]
	v_pk_add_f32 v[10:11], v[24:25], v[10:11] neg_lo:[0,1] neg_hi:[0,1]
	v_pk_add_f32 v[24:25], v[28:29], v[14:15]
	v_pk_add_f32 v[12:13], v[12:13], v[16:17] neg_lo:[0,1] neg_hi:[0,1]
	v_pk_add_f32 v[6:7], v[6:7], v[8:9]
	v_mov_b32_e32 v31, v26
	v_mov_b32_e32 v33, v23
	;; [unrolled: 1-line block ×10, first 2 shown]
	v_pk_add_f32 v[34:35], v[34:35], v[12:13] neg_lo:[0,1] neg_hi:[0,1]
	v_pk_add_f32 v[32:33], v[32:33], v[10:11] neg_lo:[0,1] neg_hi:[0,1]
	v_pk_add_f32 v[6:7], v[24:25], v[6:7]
	v_pk_add_f32 v[30:31], v[30:31], v[28:29] neg_lo:[0,1] neg_hi:[0,1]
	v_pk_add_f32 v[16:17], v[14:15], v[16:17] neg_lo:[0,1] neg_hi:[0,1]
	v_pk_add_f32 v[8:9], v[10:11], v[12:13]
	v_pk_mul_f32 v[24:25], v[34:35], s[22:23]
	v_pk_add_f32 v[2:3], v[2:3], v[6:7]
	v_pk_mul_f32 v[32:33], v[32:33], s[34:35]
	v_pk_mul_f32 v[30:31], v[30:31], s[20:21]
	;; [unrolled: 1-line block ×3, first 2 shown]
	v_mov_b32_e32 v11, v13
	v_mov_b32_e32 v29, v18
	;; [unrolled: 1-line block ×3, first 2 shown]
	v_pk_fma_f32 v[6:7], v[6:7], s[14:15], v[2:3] op_sel_hi:[1,0,1]
	v_pk_fma_f32 v[34:35], v[34:35], s[22:23], v[32:33]
	v_pk_fma_f32 v[16:17], v[16:17], s[30:31], v[30:31]
	v_pk_add_f32 v[10:11], v[10:11], v[22:23] neg_lo:[0,1] neg_hi:[0,1]
	v_pk_add_f32 v[12:13], v[28:29], v[14:15] neg_lo:[0,1] neg_hi:[0,1]
	s_mov_b32 s14, 0x3f3bfb3b
	v_mov_b32_e32 v14, v36
	v_mov_b32_e32 v15, v31
	;; [unrolled: 1-line block ×6, first 2 shown]
	v_pk_add_f32 v[8:9], v[8:9], v[22:23]
	v_pk_fma_f32 v[14:15], v[12:13], s[14:15], v[14:15] op_sel_hi:[1,0,1] neg_lo:[1,0,1] neg_hi:[1,0,1]
	v_pk_fma_f32 v[18:19], v[10:11], s[16:17], v[18:19] op_sel_hi:[1,0,1] neg_lo:[1,0,1] neg_hi:[1,0,1]
	;; [unrolled: 1-line block ×4, first 2 shown]
	v_pk_add_f32 v[16:17], v[16:17], v[6:7]
	v_pk_fma_f32 v[34:35], v[8:9], s[8:9], v[34:35] op_sel_hi:[1,0,1]
	v_pk_add_f32 v[14:15], v[14:15], v[6:7]
	v_pk_add_f32 v[22:23], v[12:13], v[6:7]
	v_pk_fma_f32 v[24:25], v[8:9], s[8:9], v[10:11] op_sel_hi:[1,0,1]
	v_pk_fma_f32 v[8:9], v[8:9], s[8:9], v[18:19] op_sel_hi:[1,0,1]
	v_pk_add_f32 v[6:7], v[16:17], v[34:35]
	v_pk_add_f32 v[16:17], v[16:17], v[34:35] neg_lo:[0,1] neg_hi:[0,1]
	v_pk_add_f32 v[12:13], v[14:15], v[8:9]
	v_pk_add_f32 v[14:15], v[14:15], v[8:9] neg_lo:[0,1] neg_hi:[0,1]
	v_pk_add_f32 v[10:11], v[22:23], v[24:25] neg_lo:[0,1] neg_hi:[0,1]
	v_pk_add_f32 v[18:19], v[22:23], v[24:25]
	s_and_saveexec_b64 s[8:9], s[0:1]
	s_cbranch_execz .LBB0_28
; %bb.27:
	v_mad_u32_u24 v4, v5, 42, v21
	v_mul_u32_u24_e32 v4, 48, v4
	v_add3_u32 v21, 0, v4, v20
	v_mov_b32_e32 v4, v6
	v_mov_b32_e32 v5, v17
	ds_write2_b64 v21, v[2:3], v[4:5] offset1:36
	v_mov_b32_e32 v4, v12
	v_mov_b32_e32 v5, v15
	v_mov_b32_e32 v8, v10
	v_mov_b32_e32 v9, v19
	ds_write2_b64 v21, v[4:5], v[8:9] offset0:72 offset1:108
	v_mov_b32_e32 v4, v18
	v_mov_b32_e32 v5, v11
	;; [unrolled: 1-line block ×4, first 2 shown]
	ds_write2_b64 v21, v[4:5], v[8:9] offset0:144 offset1:180
	v_mov_b32_e32 v4, v16
	v_mov_b32_e32 v5, v7
	ds_write_b64 v21, v[4:5] offset:1728
.LBB0_28:
	s_or_b64 exec, exec, s[8:9]
	s_movk_i32 s0, 0xfc
	v_cmp_gt_u32_e64 s[0:1], s0, v0
	v_mul_u32_u24_e32 v21, 48, v1
	s_waitcnt lgkmcnt(0)
	s_barrier
	s_and_saveexec_b64 s[8:9], s[0:1]
	s_cbranch_execz .LBB0_30
; %bb.29:
	v_add3_u32 v2, 0, v21, v20
	v_add_u32_e32 v3, 0x1f80, v2
	v_add_u32_e32 v4, 0x2f40, v2
	ds_read2_b64 v[6:9], v4 offset1:252
	ds_read2_b64 v[10:13], v3 offset1:252
	v_add_u32_e32 v3, 0xfc0, v2
	ds_read2_b64 v[22:25], v3 offset1:252
	ds_read2_b64 v[2:5], v2 offset1:252
	s_waitcnt lgkmcnt(3)
	v_mov_b32_e32 v16, v6
	s_waitcnt lgkmcnt(2)
	v_mov_b32_e32 v14, v12
	v_mov_b32_e32 v18, v10
	s_waitcnt lgkmcnt(1)
	v_mov_b32_e32 v19, v25
	v_mov_b32_e32 v10, v24
	;; [unrolled: 1-line block ×4, first 2 shown]
	s_waitcnt lgkmcnt(0)
	v_mov_b32_e32 v17, v5
	v_mov_b32_e32 v6, v4
.LBB0_30:
	s_or_b64 exec, exec, s[8:9]
	s_barrier
	s_and_saveexec_b64 s[8:9], s[0:1]
	s_cbranch_execz .LBB0_32
; %bb.31:
	v_mul_lo_u16_e32 v4, 49, v1
	v_lshrrev_b16_e32 v4, 11, v4
	v_mul_lo_u16_e32 v4, 42, v4
	v_sub_u16_e32 v1, v1, v4
	v_mov_b32_e32 v4, 56
	v_mul_hi_u32_u24_sdwa v5, v1, v4 dst_sel:DWORD dst_unused:UNUSED_PAD src0_sel:BYTE_0 src1_sel:DWORD
	v_mul_u32_u24_sdwa v4, v1, v4 dst_sel:DWORD dst_unused:UNUSED_PAD src0_sel:BYTE_0 src1_sel:DWORD
	v_lshl_add_u64 v[4:5], s[12:13], 0, v[4:5]
	global_load_dwordx4 v[22:25], v[4:5], off offset:288
	global_load_dwordx4 v[26:29], v[4:5], off offset:320
	global_load_dwordx4 v[30:33], v[4:5], off offset:304
	global_load_dwordx2 v[34:35], v[4:5], off offset:336
	v_mov_b32_e32 v4, v15
	v_mov_b32_e32 v36, v7
	;; [unrolled: 1-line block ×7, first 2 shown]
	v_add3_u32 v1, 0, v21, v20
	s_mov_b32 s0, 0x3f3504f3
	v_add_u32_e32 v48, 0xfc0, v1
	v_add_u32_e32 v49, 0x1f80, v1
	v_add_u32_e32 v50, 0x2f40, v1
	s_waitcnt vmcnt(3)
	v_pk_mul_f32 v[4:5], v[4:5], v[24:25] op_sel_hi:[0,1]
	s_waitcnt vmcnt(2)
	v_pk_mul_f32 v[20:21], v[36:37], v[28:29] op_sel_hi:[0,1]
	;; [unrolled: 2-line block ×3, first 2 shown]
	v_pk_mul_f32 v[38:39], v[40:41], v[22:23] op_sel_hi:[0,1]
	v_pk_mul_f32 v[40:41], v[42:43], v[26:27] op_sel_hi:[0,1]
	;; [unrolled: 1-line block ×3, first 2 shown]
	s_waitcnt vmcnt(0)
	v_pk_mul_f32 v[44:45], v[46:47], v[34:35] op_sel_hi:[0,1]
	v_pk_fma_f32 v[46:47], v[18:19], v[32:33], v[36:37] op_sel:[0,0,1] op_sel_hi:[1,1,0] neg_lo:[0,0,1] neg_hi:[0,0,1]
	v_pk_fma_f32 v[18:19], v[18:19], v[32:33], v[36:37] op_sel:[0,0,1] op_sel_hi:[0,1,0]
	v_pk_fma_f32 v[32:33], v[12:13], v[24:25], v[4:5] op_sel:[0,0,1] op_sel_hi:[1,1,0] neg_lo:[0,0,1] neg_hi:[0,0,1]
	v_pk_fma_f32 v[4:5], v[12:13], v[24:25], v[4:5] op_sel:[0,0,1] op_sel_hi:[0,1,0]
	;; [unrolled: 2-line block ×7, first 2 shown]
	v_mov_b32_e32 v47, v19
	v_mov_b32_e32 v33, v5
	;; [unrolled: 1-line block ×7, first 2 shown]
	v_pk_add_f32 v[4:5], v[2:3], v[46:47] neg_lo:[0,1] neg_hi:[0,1]
	v_pk_add_f32 v[6:7], v[32:33], v[12:13] neg_lo:[0,1] neg_hi:[0,1]
	;; [unrolled: 1-line block ×4, first 2 shown]
	v_pk_fma_f32 v[2:3], v[2:3], 2.0, v[4:5] op_sel_hi:[1,0,1] neg_lo:[0,0,1] neg_hi:[0,0,1]
	v_pk_fma_f32 v[12:13], v[32:33], 2.0, v[6:7] op_sel_hi:[1,0,1] neg_lo:[0,0,1] neg_hi:[0,0,1]
	;; [unrolled: 1-line block ×4, first 2 shown]
	v_pk_add_f32 v[18:19], v[4:5], v[6:7] op_sel:[0,1] op_sel_hi:[1,0] neg_lo:[0,1] neg_hi:[0,1]
	v_pk_add_f32 v[6:7], v[4:5], v[6:7] op_sel:[0,1] op_sel_hi:[1,0]
	v_pk_add_f32 v[20:21], v[10:11], v[8:9] op_sel:[0,1] op_sel_hi:[1,0] neg_lo:[0,1] neg_hi:[0,1]
	v_pk_add_f32 v[8:9], v[10:11], v[8:9] op_sel:[0,1] op_sel_hi:[1,0]
	v_pk_add_f32 v[12:13], v[2:3], v[12:13] neg_lo:[0,1] neg_hi:[0,1]
	v_pk_add_f32 v[16:17], v[14:15], v[16:17] neg_lo:[0,1] neg_hi:[0,1]
	v_mov_b32_e32 v19, v7
	v_mov_b32_e32 v21, v9
	v_pk_fma_f32 v[6:7], v[14:15], 2.0, v[16:17] op_sel_hi:[1,0,1] neg_lo:[0,0,1] neg_hi:[0,0,1]
	v_pk_fma_f32 v[8:9], v[10:11], 2.0, v[20:21] op_sel_hi:[1,0,1] neg_lo:[0,0,1] neg_hi:[0,0,1]
	;; [unrolled: 1-line block ×3, first 2 shown]
	v_pk_add_f32 v[10:11], v[12:13], v[16:17] op_sel:[0,1] op_sel_hi:[1,0] neg_lo:[0,1] neg_hi:[0,1]
	v_pk_add_f32 v[14:15], v[12:13], v[16:17] op_sel:[0,1] op_sel_hi:[1,0]
	v_pk_mul_f32 v[16:17], v[20:21], s[0:1] op_sel_hi:[1,0]
	v_pk_fma_f32 v[20:21], v[20:21], s[0:1], v[18:19] op_sel_hi:[1,0,1]
	v_pk_mul_f32 v[22:23], v[8:9], s[0:1] op_sel_hi:[1,0]
	v_pk_fma_f32 v[8:9], v[8:9], s[0:1], v[4:5] op_sel_hi:[1,0,1] neg_lo:[1,0,0] neg_hi:[1,0,0]
	v_mov_b32_e32 v11, v15
	v_pk_add_f32 v[14:15], v[20:21], v[16:17] op_sel:[0,1] op_sel_hi:[1,0] neg_lo:[0,1] neg_hi:[0,1]
	v_pk_add_f32 v[16:17], v[20:21], v[16:17] op_sel:[0,1] op_sel_hi:[1,0]
	v_pk_fma_f32 v[2:3], v[2:3], 2.0, v[12:13] op_sel_hi:[1,0,1] neg_lo:[0,0,1] neg_hi:[0,0,1]
	v_pk_add_f32 v[20:21], v[8:9], v[22:23] op_sel:[0,1] op_sel_hi:[1,0] neg_lo:[0,1] neg_hi:[0,1]
	v_pk_add_f32 v[8:9], v[8:9], v[22:23] op_sel:[0,1] op_sel_hi:[1,0]
	v_mov_b32_e32 v15, v17
	v_pk_add_f32 v[6:7], v[2:3], v[6:7] neg_lo:[0,1] neg_hi:[0,1]
	v_pk_fma_f32 v[12:13], v[12:13], 2.0, v[10:11] op_sel_hi:[1,0,1] neg_lo:[0,0,1] neg_hi:[0,0,1]
	v_mov_b32_e32 v21, v9
	v_pk_fma_f32 v[8:9], v[18:19], 2.0, v[14:15] op_sel_hi:[1,0,1] neg_lo:[0,0,1] neg_hi:[0,0,1]
	v_pk_fma_f32 v[2:3], v[2:3], 2.0, v[6:7] op_sel_hi:[1,0,1] neg_lo:[0,0,1] neg_hi:[0,0,1]
	v_pk_fma_f32 v[4:5], v[4:5], 2.0, v[20:21] op_sel_hi:[1,0,1] neg_lo:[0,0,1] neg_hi:[0,0,1]
	ds_write2_b64 v48, v[12:13], v[8:9] offset1:252
	ds_write2_b64 v49, v[6:7], v[20:21] offset1:252
	;; [unrolled: 1-line block ×4, first 2 shown]
.LBB0_32:
	s_or_b64 exec, exec, s[8:9]
	s_mul_i32 s0, s3, s28
	s_mul_hi_u32 s1, s2, s28
	s_add_i32 s1, s1, s0
	s_mul_i32 s0, s2, s28
	s_movk_i32 s2, 0x187
	v_mul_u32_u24_sdwa v1, v0, s2 dst_sel:DWORD dst_unused:UNUSED_PAD src0_sel:WORD_0 src1_sel:DWORD
	v_lshrrev_b32_e32 v2, 17, v1
	s_add_u32 s0, s0, s19
	v_mul_lo_u16_e32 v1, 0x150, v2
	s_addc_u32 s1, s1, s17
	v_sub_u16_e32 v6, v0, v1
	s_andn2_b64 vcc, exec, vcc
	s_mov_b64 s[2:3], -1
	s_waitcnt lgkmcnt(0)
	s_barrier
	s_cbranch_vccz .LBB0_35
; %bb.33:
	s_andn2_b64 vcc, exec, s[2:3]
	s_cbranch_vccz .LBB0_39
.LBB0_34:
	s_endpgm
.LBB0_35:
	v_mov_b32_e32 v3, 0
	v_lshl_add_u64 v[0:1], s[26:27], 0, v[2:3]
	v_cmp_gt_u64_e32 vcc, s[24:25], v[0:1]
	s_and_saveexec_b64 s[2:3], vcc
	s_cbranch_execz .LBB0_38
; %bb.36:
	v_mad_u64_u32 v[4:5], s[8:9], s4, v6, 0
	v_mov_b32_e32 v8, v5
	v_mad_u64_u32 v[8:9], s[8:9], s5, v6, v[8:9]
	s_lshl_b64 s[8:9], s[0:1], 3
	s_add_u32 s8, s10, s8
	v_mov_b32_e32 v5, v8
	v_mul_u32_u24_e32 v3, 48, v6
	s_addc_u32 s9, s11, s9
	v_lshl_add_u64 v[4:5], v[4:5], 3, s[8:9]
	v_lshl_or_b32 v3, v2, 3, v3
	s_mov_b32 s9, 0
	v_add_u32_e32 v3, 0, v3
	s_mov_b64 s[12:13], 0
	s_mov_b32 s8, s9
.LBB0_37:                               ; =>This Inner Loop Header: Depth=1
	v_add_u32_e32 v7, s8, v2
	ds_read_b64 v[8:9], v3
	s_add_i32 s8, s8, 1
	v_mad_u64_u32 v[10:11], s[14:15], s6, v7, 0
	v_lshl_add_u64 v[12:13], v[0:1], 0, s[8:9]
	v_mov_b32_e32 v14, v11
	v_cmp_le_u64_e32 vcc, s[24:25], v[12:13]
	v_mad_u64_u32 v[12:13], s[14:15], s7, v7, v[14:15]
	v_mov_b32_e32 v11, v12
	v_add_u32_e32 v3, 8, v3
	s_or_b64 s[12:13], vcc, s[12:13]
	v_lshl_add_u64 v[10:11], v[10:11], 3, v[4:5]
	s_waitcnt lgkmcnt(0)
	global_store_dwordx2 v[10:11], v[8:9], off
	s_andn2_b64 exec, exec, s[12:13]
	s_cbranch_execnz .LBB0_37
.LBB0_38:
	s_or_b64 exec, exec, s[2:3]
	s_cbranch_execnz .LBB0_34
.LBB0_39:
	v_mad_u64_u32 v[0:1], s[2:3], s4, v6, 0
	v_mov_b32_e32 v4, v1
	v_mad_u64_u32 v[4:5], s[2:3], s5, v6, v[4:5]
	v_mov_b32_e32 v1, v4
	v_mul_u32_u24_e32 v3, 48, v6
	v_lshlrev_b32_e32 v4, 3, v2
	v_add3_u32 v3, 0, v3, v4
	s_lshl_b64 s[0:1], s[0:1], 3
	ds_read2_b64 v[4:7], v3 offset1:1
	s_add_u32 s0, s10, s0
	s_addc_u32 s1, s11, s1
	v_mul_lo_u32 v9, s7, v2
	v_mul_lo_u32 v8, s6, v2
	v_lshl_add_u64 v[0:1], v[0:1], 3, s[0:1]
	v_lshl_add_u64 v[12:13], v[8:9], 3, v[0:1]
	ds_read2_b64 v[8:11], v3 offset0:2 offset1:3
	s_waitcnt lgkmcnt(1)
	global_store_dwordx2 v[12:13], v[4:5], off
	v_add_u32_e32 v13, 1, v2
	v_mad_u64_u32 v[4:5], s[0:1], s6, v13, 0
	v_mov_b32_e32 v12, v5
	v_mad_u64_u32 v[12:13], s[0:1], s7, v13, v[12:13]
	v_mov_b32_e32 v5, v12
	v_lshl_add_u64 v[4:5], v[4:5], 3, v[0:1]
	global_store_dwordx2 v[4:5], v[6:7], off
	v_or_b32_e32 v7, 2, v2
	v_mad_u64_u32 v[4:5], s[0:1], s6, v7, 0
	v_mov_b32_e32 v6, v5
	v_mad_u64_u32 v[6:7], s[0:1], s7, v7, v[6:7]
	v_mov_b32_e32 v5, v6
	v_lshl_add_u64 v[4:5], v[4:5], 3, v[0:1]
	v_add_u32_e32 v7, 3, v2
	s_waitcnt lgkmcnt(0)
	global_store_dwordx2 v[4:5], v[8:9], off
	v_mad_u64_u32 v[4:5], s[0:1], s6, v7, 0
	v_mov_b32_e32 v6, v5
	v_mad_u64_u32 v[6:7], s[0:1], s7, v7, v[6:7]
	v_mov_b32_e32 v5, v6
	v_lshl_add_u64 v[4:5], v[4:5], 3, v[0:1]
	global_store_dwordx2 v[4:5], v[10:11], off
	v_or_b32_e32 v11, 4, v2
	v_mad_u64_u32 v[8:9], s[0:1], s6, v11, 0
	ds_read2_b64 v[4:7], v3 offset0:4 offset1:5
	v_mov_b32_e32 v10, v9
	v_mad_u64_u32 v[10:11], s[0:1], s7, v11, v[10:11]
	v_mov_b32_e32 v9, v10
	v_lshl_add_u64 v[8:9], v[8:9], 3, v[0:1]
	s_waitcnt lgkmcnt(0)
	global_store_dwordx2 v[8:9], v[4:5], off
	v_add_u32_e32 v5, 5, v2
	v_mad_u64_u32 v[2:3], s[0:1], s6, v5, 0
	v_mov_b32_e32 v4, v3
	v_mad_u64_u32 v[4:5], s[0:1], s7, v5, v[4:5]
	v_mov_b32_e32 v3, v4
	v_lshl_add_u64 v[0:1], v[2:3], 3, v[0:1]
	global_store_dwordx2 v[0:1], v[6:7], off
	s_endpgm
	.section	.rodata,"a",@progbits
	.p2align	6, 0x0
	.amdhsa_kernel fft_rtc_fwd_len336_factors_6_7_8_wgs_336_tpt_56_sp_op_CI_CI_sbcr_dirReg_intrinsicReadWrite
		.amdhsa_group_segment_fixed_size 0
		.amdhsa_private_segment_fixed_size 0
		.amdhsa_kernarg_size 104
		.amdhsa_user_sgpr_count 2
		.amdhsa_user_sgpr_dispatch_ptr 0
		.amdhsa_user_sgpr_queue_ptr 0
		.amdhsa_user_sgpr_kernarg_segment_ptr 1
		.amdhsa_user_sgpr_dispatch_id 0
		.amdhsa_user_sgpr_kernarg_preload_length 0
		.amdhsa_user_sgpr_kernarg_preload_offset 0
		.amdhsa_user_sgpr_private_segment_size 0
		.amdhsa_uses_dynamic_stack 0
		.amdhsa_enable_private_segment 0
		.amdhsa_system_sgpr_workgroup_id_x 1
		.amdhsa_system_sgpr_workgroup_id_y 0
		.amdhsa_system_sgpr_workgroup_id_z 0
		.amdhsa_system_sgpr_workgroup_info 0
		.amdhsa_system_vgpr_workitem_id 0
		.amdhsa_next_free_vgpr 51
		.amdhsa_next_free_sgpr 53
		.amdhsa_accum_offset 52
		.amdhsa_reserve_vcc 1
		.amdhsa_float_round_mode_32 0
		.amdhsa_float_round_mode_16_64 0
		.amdhsa_float_denorm_mode_32 3
		.amdhsa_float_denorm_mode_16_64 3
		.amdhsa_dx10_clamp 1
		.amdhsa_ieee_mode 1
		.amdhsa_fp16_overflow 0
		.amdhsa_tg_split 0
		.amdhsa_exception_fp_ieee_invalid_op 0
		.amdhsa_exception_fp_denorm_src 0
		.amdhsa_exception_fp_ieee_div_zero 0
		.amdhsa_exception_fp_ieee_overflow 0
		.amdhsa_exception_fp_ieee_underflow 0
		.amdhsa_exception_fp_ieee_inexact 0
		.amdhsa_exception_int_div_zero 0
	.end_amdhsa_kernel
	.text
.Lfunc_end0:
	.size	fft_rtc_fwd_len336_factors_6_7_8_wgs_336_tpt_56_sp_op_CI_CI_sbcr_dirReg_intrinsicReadWrite, .Lfunc_end0-fft_rtc_fwd_len336_factors_6_7_8_wgs_336_tpt_56_sp_op_CI_CI_sbcr_dirReg_intrinsicReadWrite
                                        ; -- End function
	.section	.AMDGPU.csdata,"",@progbits
; Kernel info:
; codeLenInByte = 4976
; NumSgprs: 59
; NumVgprs: 51
; NumAgprs: 0
; TotalNumVgprs: 51
; ScratchSize: 0
; MemoryBound: 0
; FloatMode: 240
; IeeeMode: 1
; LDSByteSize: 0 bytes/workgroup (compile time only)
; SGPRBlocks: 7
; VGPRBlocks: 6
; NumSGPRsForWavesPerEU: 59
; NumVGPRsForWavesPerEU: 51
; AccumOffset: 52
; Occupancy: 8
; WaveLimiterHint : 1
; COMPUTE_PGM_RSRC2:SCRATCH_EN: 0
; COMPUTE_PGM_RSRC2:USER_SGPR: 2
; COMPUTE_PGM_RSRC2:TRAP_HANDLER: 0
; COMPUTE_PGM_RSRC2:TGID_X_EN: 1
; COMPUTE_PGM_RSRC2:TGID_Y_EN: 0
; COMPUTE_PGM_RSRC2:TGID_Z_EN: 0
; COMPUTE_PGM_RSRC2:TIDIG_COMP_CNT: 0
; COMPUTE_PGM_RSRC3_GFX90A:ACCUM_OFFSET: 12
; COMPUTE_PGM_RSRC3_GFX90A:TG_SPLIT: 0
	.text
	.p2alignl 6, 3212836864
	.fill 256, 4, 3212836864
	.type	__hip_cuid_8c18293af9606281,@object ; @__hip_cuid_8c18293af9606281
	.section	.bss,"aw",@nobits
	.globl	__hip_cuid_8c18293af9606281
__hip_cuid_8c18293af9606281:
	.byte	0                               ; 0x0
	.size	__hip_cuid_8c18293af9606281, 1

	.ident	"AMD clang version 19.0.0git (https://github.com/RadeonOpenCompute/llvm-project roc-6.4.0 25133 c7fe45cf4b819c5991fe208aaa96edf142730f1d)"
	.section	".note.GNU-stack","",@progbits
	.addrsig
	.addrsig_sym __hip_cuid_8c18293af9606281
	.amdgpu_metadata
---
amdhsa.kernels:
  - .agpr_count:     0
    .args:
      - .actual_access:  read_only
        .address_space:  global
        .offset:         0
        .size:           8
        .value_kind:     global_buffer
      - .offset:         8
        .size:           8
        .value_kind:     by_value
      - .actual_access:  read_only
        .address_space:  global
        .offset:         16
        .size:           8
        .value_kind:     global_buffer
      - .actual_access:  read_only
        .address_space:  global
        .offset:         24
        .size:           8
        .value_kind:     global_buffer
      - .actual_access:  read_only
        .address_space:  global
        .offset:         32
        .size:           8
        .value_kind:     global_buffer
      - .offset:         40
        .size:           8
        .value_kind:     by_value
      - .actual_access:  read_only
        .address_space:  global
        .offset:         48
        .size:           8
        .value_kind:     global_buffer
      - .actual_access:  read_only
        .address_space:  global
        .offset:         56
        .size:           8
        .value_kind:     global_buffer
      - .offset:         64
        .size:           4
        .value_kind:     by_value
      - .actual_access:  read_only
        .address_space:  global
        .offset:         72
        .size:           8
        .value_kind:     global_buffer
      - .actual_access:  read_only
        .address_space:  global
        .offset:         80
        .size:           8
        .value_kind:     global_buffer
      - .actual_access:  read_only
        .address_space:  global
        .offset:         88
        .size:           8
        .value_kind:     global_buffer
      - .actual_access:  write_only
        .address_space:  global
        .offset:         96
        .size:           8
        .value_kind:     global_buffer
    .group_segment_fixed_size: 0
    .kernarg_segment_align: 8
    .kernarg_segment_size: 104
    .language:       OpenCL C
    .language_version:
      - 2
      - 0
    .max_flat_workgroup_size: 336
    .name:           fft_rtc_fwd_len336_factors_6_7_8_wgs_336_tpt_56_sp_op_CI_CI_sbcr_dirReg_intrinsicReadWrite
    .private_segment_fixed_size: 0
    .sgpr_count:     59
    .sgpr_spill_count: 0
    .symbol:         fft_rtc_fwd_len336_factors_6_7_8_wgs_336_tpt_56_sp_op_CI_CI_sbcr_dirReg_intrinsicReadWrite.kd
    .uniform_work_group_size: 1
    .uses_dynamic_stack: false
    .vgpr_count:     51
    .vgpr_spill_count: 0
    .wavefront_size: 64
amdhsa.target:   amdgcn-amd-amdhsa--gfx950
amdhsa.version:
  - 1
  - 2
...

	.end_amdgpu_metadata
